;; amdgpu-corpus repo=ROCm/rocFFT kind=compiled arch=gfx90a opt=O3
	.text
	.amdgcn_target "amdgcn-amd-amdhsa--gfx90a"
	.amdhsa_code_object_version 6
	.protected	fft_rtc_back_len490_factors_10_7_7_wgs_210_tpt_70_dp_ip_CI_sbrr_dirReg ; -- Begin function fft_rtc_back_len490_factors_10_7_7_wgs_210_tpt_70_dp_ip_CI_sbrr_dirReg
	.globl	fft_rtc_back_len490_factors_10_7_7_wgs_210_tpt_70_dp_ip_CI_sbrr_dirReg
	.p2align	8
	.type	fft_rtc_back_len490_factors_10_7_7_wgs_210_tpt_70_dp_ip_CI_sbrr_dirReg,@function
fft_rtc_back_len490_factors_10_7_7_wgs_210_tpt_70_dp_ip_CI_sbrr_dirReg: ; @fft_rtc_back_len490_factors_10_7_7_wgs_210_tpt_70_dp_ip_CI_sbrr_dirReg
; %bb.0:
	s_load_dwordx2 s[14:15], s[4:5], 0x18
	s_load_dwordx4 s[8:11], s[4:5], 0x0
	s_load_dwordx2 s[12:13], s[4:5], 0x50
	v_mul_u32_u24_e32 v1, 0x3a9, v0
	v_lshrrev_b32_e32 v2, 16, v1
	s_waitcnt lgkmcnt(0)
	s_load_dwordx2 s[2:3], s[14:15], 0x0
	v_mad_u64_u32 v[42:43], s[0:1], s6, 3, v[2:3]
	v_mov_b32_e32 v4, 0
	v_mov_b32_e32 v43, v4
	v_cmp_lt_u64_e64 s[0:1], s[10:11], 2
	s_and_b64 vcc, exec, s[0:1]
	v_pk_mov_b32 v[2:3], 0, 0
	v_pk_mov_b32 v[8:9], v[42:43], v[42:43] op_sel:[0,1]
	s_cbranch_vccnz .LBB0_8
; %bb.1:
	s_load_dwordx2 s[0:1], s[4:5], 0x10
	s_add_u32 s6, s14, 8
	s_addc_u32 s7, s15, 0
	s_mov_b64 s[16:17], 1
	v_pk_mov_b32 v[2:3], 0, 0
	s_waitcnt lgkmcnt(0)
	s_add_u32 s18, s0, 8
	s_addc_u32 s19, s1, 0
	v_pk_mov_b32 v[6:7], v[42:43], v[42:43] op_sel:[0,1]
.LBB0_2:                                ; =>This Inner Loop Header: Depth=1
	s_load_dwordx2 s[20:21], s[18:19], 0x0
                                        ; implicit-def: $vgpr8_vgpr9
	s_waitcnt lgkmcnt(0)
	v_or_b32_e32 v5, s21, v7
	v_cmp_ne_u64_e32 vcc, 0, v[4:5]
	s_and_saveexec_b64 s[0:1], vcc
	s_xor_b64 s[22:23], exec, s[0:1]
	s_cbranch_execz .LBB0_4
; %bb.3:                                ;   in Loop: Header=BB0_2 Depth=1
	v_cvt_f32_u32_e32 v1, s20
	v_cvt_f32_u32_e32 v5, s21
	s_sub_u32 s0, 0, s20
	s_subb_u32 s1, 0, s21
	v_mac_f32_e32 v1, 0x4f800000, v5
	v_rcp_f32_e32 v1, v1
	v_mul_f32_e32 v1, 0x5f7ffffc, v1
	v_mul_f32_e32 v5, 0x2f800000, v1
	v_trunc_f32_e32 v5, v5
	v_mac_f32_e32 v1, 0xcf800000, v5
	v_cvt_u32_f32_e32 v5, v5
	v_cvt_u32_f32_e32 v1, v1
	v_mul_lo_u32 v8, s0, v5
	v_mul_hi_u32 v10, s0, v1
	v_mul_lo_u32 v9, s1, v1
	v_add_u32_e32 v8, v10, v8
	v_mul_lo_u32 v11, s0, v1
	v_add_u32_e32 v8, v8, v9
	v_mul_hi_u32 v10, v1, v11
	v_mul_lo_u32 v12, v1, v8
	v_mul_hi_u32 v9, v1, v8
	v_add_co_u32_e32 v10, vcc, v10, v12
	v_addc_co_u32_e32 v9, vcc, 0, v9, vcc
	v_mul_hi_u32 v13, v5, v11
	v_mul_lo_u32 v11, v5, v11
	v_add_co_u32_e32 v10, vcc, v10, v11
	v_mul_hi_u32 v12, v5, v8
	v_addc_co_u32_e32 v9, vcc, v9, v13, vcc
	v_addc_co_u32_e32 v10, vcc, 0, v12, vcc
	v_mul_lo_u32 v8, v5, v8
	v_add_co_u32_e32 v8, vcc, v9, v8
	v_addc_co_u32_e32 v9, vcc, 0, v10, vcc
	v_add_co_u32_e32 v1, vcc, v1, v8
	v_addc_co_u32_e32 v5, vcc, v5, v9, vcc
	v_mul_lo_u32 v8, s0, v5
	v_mul_hi_u32 v9, s0, v1
	v_add_u32_e32 v8, v9, v8
	v_mul_lo_u32 v9, s1, v1
	v_add_u32_e32 v8, v8, v9
	v_mul_lo_u32 v10, s0, v1
	v_mul_hi_u32 v11, v5, v10
	v_mul_lo_u32 v12, v5, v10
	v_mul_lo_u32 v14, v1, v8
	v_mul_hi_u32 v10, v1, v10
	v_mul_hi_u32 v13, v1, v8
	v_add_co_u32_e32 v10, vcc, v10, v14
	v_addc_co_u32_e32 v13, vcc, 0, v13, vcc
	v_add_co_u32_e32 v10, vcc, v10, v12
	v_mul_hi_u32 v9, v5, v8
	v_addc_co_u32_e32 v10, vcc, v13, v11, vcc
	v_addc_co_u32_e32 v9, vcc, 0, v9, vcc
	v_mul_lo_u32 v8, v5, v8
	v_add_co_u32_e32 v8, vcc, v10, v8
	v_addc_co_u32_e32 v9, vcc, 0, v9, vcc
	v_add_co_u32_e32 v1, vcc, v1, v8
	v_addc_co_u32_e32 v5, vcc, v5, v9, vcc
	v_mad_u64_u32 v[8:9], s[0:1], v6, v5, 0
	v_mul_hi_u32 v10, v6, v1
	v_add_co_u32_e32 v12, vcc, v10, v8
	v_addc_co_u32_e32 v13, vcc, 0, v9, vcc
	v_mad_u64_u32 v[10:11], s[0:1], v7, v1, 0
	v_add_co_u32_e32 v1, vcc, v12, v10
	v_mad_u64_u32 v[8:9], s[0:1], v7, v5, 0
	v_addc_co_u32_e32 v1, vcc, v13, v11, vcc
	v_addc_co_u32_e32 v5, vcc, 0, v9, vcc
	v_add_co_u32_e32 v1, vcc, v1, v8
	v_addc_co_u32_e32 v5, vcc, 0, v5, vcc
	v_mul_lo_u32 v10, s21, v1
	v_mul_lo_u32 v11, s20, v5
	v_mad_u64_u32 v[8:9], s[0:1], s20, v1, 0
	v_add3_u32 v9, v9, v11, v10
	v_sub_u32_e32 v10, v7, v9
	v_mov_b32_e32 v11, s21
	v_sub_co_u32_e32 v8, vcc, v6, v8
	v_subb_co_u32_e64 v10, s[0:1], v10, v11, vcc
	v_subrev_co_u32_e64 v11, s[0:1], s20, v8
	v_subbrev_co_u32_e64 v10, s[0:1], 0, v10, s[0:1]
	v_cmp_le_u32_e64 s[0:1], s21, v10
	v_cndmask_b32_e64 v12, 0, -1, s[0:1]
	v_cmp_le_u32_e64 s[0:1], s20, v11
	v_cndmask_b32_e64 v11, 0, -1, s[0:1]
	v_cmp_eq_u32_e64 s[0:1], s21, v10
	v_cndmask_b32_e64 v10, v12, v11, s[0:1]
	v_add_co_u32_e64 v11, s[0:1], 2, v1
	v_addc_co_u32_e64 v12, s[0:1], 0, v5, s[0:1]
	v_add_co_u32_e64 v13, s[0:1], 1, v1
	v_addc_co_u32_e64 v14, s[0:1], 0, v5, s[0:1]
	v_subb_co_u32_e32 v9, vcc, v7, v9, vcc
	v_cmp_ne_u32_e64 s[0:1], 0, v10
	v_cmp_le_u32_e32 vcc, s21, v9
	v_cndmask_b32_e64 v10, v14, v12, s[0:1]
	v_cndmask_b32_e64 v12, 0, -1, vcc
	v_cmp_le_u32_e32 vcc, s20, v8
	v_cndmask_b32_e64 v8, 0, -1, vcc
	v_cmp_eq_u32_e32 vcc, s21, v9
	v_cndmask_b32_e32 v8, v12, v8, vcc
	v_cmp_ne_u32_e32 vcc, 0, v8
	v_cndmask_b32_e32 v9, v5, v10, vcc
	v_cndmask_b32_e64 v5, v13, v11, s[0:1]
	v_cndmask_b32_e32 v8, v1, v5, vcc
.LBB0_4:                                ;   in Loop: Header=BB0_2 Depth=1
	s_andn2_saveexec_b64 s[0:1], s[22:23]
	s_cbranch_execz .LBB0_6
; %bb.5:                                ;   in Loop: Header=BB0_2 Depth=1
	v_cvt_f32_u32_e32 v1, s20
	s_sub_i32 s22, 0, s20
	v_rcp_iflag_f32_e32 v1, v1
	v_mul_f32_e32 v1, 0x4f7ffffe, v1
	v_cvt_u32_f32_e32 v1, v1
	v_mul_lo_u32 v5, s22, v1
	v_mul_hi_u32 v5, v1, v5
	v_add_u32_e32 v1, v1, v5
	v_mul_hi_u32 v1, v6, v1
	v_mul_lo_u32 v5, v1, s20
	v_sub_u32_e32 v5, v6, v5
	v_add_u32_e32 v8, 1, v1
	v_subrev_u32_e32 v9, s20, v5
	v_cmp_le_u32_e32 vcc, s20, v5
	v_cndmask_b32_e32 v5, v5, v9, vcc
	v_cndmask_b32_e32 v1, v1, v8, vcc
	v_add_u32_e32 v8, 1, v1
	v_cmp_le_u32_e32 vcc, s20, v5
	v_cndmask_b32_e32 v8, v1, v8, vcc
	v_mov_b32_e32 v9, v4
.LBB0_6:                                ;   in Loop: Header=BB0_2 Depth=1
	s_or_b64 exec, exec, s[0:1]
	v_mad_u64_u32 v[10:11], s[0:1], v8, s20, 0
	s_load_dwordx2 s[0:1], s[6:7], 0x0
	v_mul_lo_u32 v1, v9, s20
	v_mul_lo_u32 v5, v8, s21
	v_add3_u32 v1, v11, v5, v1
	v_sub_co_u32_e32 v5, vcc, v6, v10
	s_add_u32 s16, s16, 1
	v_subb_co_u32_e32 v1, vcc, v7, v1, vcc
	s_addc_u32 s17, s17, 0
	s_waitcnt lgkmcnt(0)
	v_mul_lo_u32 v1, s0, v1
	v_mul_lo_u32 v6, s1, v5
	v_mad_u64_u32 v[2:3], s[0:1], s0, v5, v[2:3]
	s_add_u32 s6, s6, 8
	v_add3_u32 v3, v6, v3, v1
	s_addc_u32 s7, s7, 0
	v_pk_mov_b32 v[6:7], s[10:11], s[10:11] op_sel:[0,1]
	s_add_u32 s18, s18, 8
	v_cmp_ge_u64_e32 vcc, s[16:17], v[6:7]
	s_addc_u32 s19, s19, 0
	s_cbranch_vccnz .LBB0_8
; %bb.7:                                ;   in Loop: Header=BB0_2 Depth=1
	v_pk_mov_b32 v[6:7], v[8:9], v[8:9] op_sel:[0,1]
	s_branch .LBB0_2
.LBB0_8:
	s_lshl_b64 s[0:1], s[10:11], 3
	s_add_u32 s0, s14, s0
	s_addc_u32 s1, s15, s1
	s_load_dwordx2 s[6:7], s[0:1], 0x0
	s_load_dwordx2 s[10:11], s[4:5], 0x20
	v_mov_b32_e32 v48, 0
                                        ; implicit-def: $vgpr34_vgpr35
                                        ; implicit-def: $vgpr38_vgpr39
                                        ; implicit-def: $vgpr22_vgpr23
                                        ; implicit-def: $vgpr30_vgpr31
                                        ; implicit-def: $vgpr10_vgpr11
                                        ; implicit-def: $vgpr18_vgpr19
                                        ; implicit-def: $vgpr26_vgpr27
                                        ; implicit-def: $vgpr6_vgpr7
                                        ; implicit-def: $vgpr14_vgpr15
	s_waitcnt lgkmcnt(0)
	v_mad_u64_u32 v[40:41], s[0:1], s6, v8, v[2:3]
	v_mul_lo_u32 v1, s6, v9
	v_mul_lo_u32 v4, s7, v8
	s_mov_b32 s0, 0x3a83a84
	v_add3_u32 v41, v4, v41, v1
	v_mul_hi_u32 v1, v0, s0
	v_mul_u32_u24_e32 v1, 0x46, v1
	v_cmp_gt_u64_e32 vcc, s[10:11], v[8:9]
	v_sub_u32_e32 v49, v0, v1
                                        ; implicit-def: $vgpr2_vgpr3
	s_and_saveexec_b64 s[4:5], vcc
	s_cbranch_execz .LBB0_12
; %bb.9:
	v_cmp_gt_u32_e64 s[0:1], 49, v49
                                        ; implicit-def: $vgpr0_vgpr1
                                        ; implicit-def: $vgpr12_vgpr13
                                        ; implicit-def: $vgpr4_vgpr5
                                        ; implicit-def: $vgpr24_vgpr25
                                        ; implicit-def: $vgpr16_vgpr17
                                        ; implicit-def: $vgpr8_vgpr9
                                        ; implicit-def: $vgpr28_vgpr29
                                        ; implicit-def: $vgpr20_vgpr21
                                        ; implicit-def: $vgpr36_vgpr37
                                        ; implicit-def: $vgpr32_vgpr33
	s_and_saveexec_b64 s[6:7], s[0:1]
	s_cbranch_execz .LBB0_11
; %bb.10:
	v_mad_u64_u32 v[0:1], s[0:1], s2, v49, 0
	v_mov_b32_e32 v2, v1
	v_mad_u64_u32 v[2:3], s[0:1], s3, v49, v[2:3]
	v_mov_b32_e32 v1, v2
	v_lshlrev_b64 v[2:3], 4, v[40:41]
	v_mov_b32_e32 v4, s13
	v_add_co_u32_e64 v36, s[0:1], s12, v2
	v_addc_co_u32_e64 v37, s[0:1], v4, v3, s[0:1]
	v_lshlrev_b64 v[0:1], 4, v[0:1]
	v_add_co_u32_e64 v4, s[0:1], v36, v0
	v_add_u32_e32 v3, 49, v49
	v_addc_co_u32_e64 v5, s[0:1], v37, v1, s[0:1]
	v_mad_u64_u32 v[0:1], s[0:1], s2, v3, 0
	v_mov_b32_e32 v2, v1
	v_mad_u64_u32 v[2:3], s[0:1], s3, v3, v[2:3]
	v_mov_b32_e32 v1, v2
	v_lshlrev_b64 v[0:1], 4, v[0:1]
	v_add_co_u32_e64 v6, s[0:1], v36, v0
	v_addc_co_u32_e64 v7, s[0:1], v37, v1, s[0:1]
	global_load_dwordx4 v[0:3], v[4:5], off
	global_load_dwordx4 v[12:15], v[6:7], off
	v_add_u32_e32 v7, 0x62, v49
	v_mad_u64_u32 v[4:5], s[0:1], s2, v7, 0
	v_mov_b32_e32 v6, v5
	v_mad_u64_u32 v[6:7], s[0:1], s3, v7, v[6:7]
	v_mov_b32_e32 v5, v6
	v_lshlrev_b64 v[4:5], 4, v[4:5]
	v_add_co_u32_e64 v8, s[0:1], v36, v4
	v_add_u32_e32 v7, 0x93, v49
	v_addc_co_u32_e64 v9, s[0:1], v37, v5, s[0:1]
	v_mad_u64_u32 v[4:5], s[0:1], s2, v7, 0
	v_mov_b32_e32 v6, v5
	v_mad_u64_u32 v[6:7], s[0:1], s3, v7, v[6:7]
	v_mov_b32_e32 v5, v6
	v_lshlrev_b64 v[4:5], 4, v[4:5]
	v_add_co_u32_e64 v10, s[0:1], v36, v4
	v_addc_co_u32_e64 v11, s[0:1], v37, v5, s[0:1]
	global_load_dwordx4 v[4:7], v[8:9], off
	global_load_dwordx4 v[24:27], v[10:11], off
	v_add_u32_e32 v11, 0xc4, v49
	v_mad_u64_u32 v[8:9], s[0:1], s2, v11, 0
	v_mov_b32_e32 v10, v9
	v_mad_u64_u32 v[10:11], s[0:1], s3, v11, v[10:11]
	v_mov_b32_e32 v9, v10
	;; [unrolled: 18-line block ×4, first 2 shown]
	v_lshlrev_b64 v[32:33], 4, v[32:33]
	v_add_co_u32_e64 v44, s[0:1], v36, v32
	v_add_u32_e32 v35, 0x1b9, v49
	v_addc_co_u32_e64 v45, s[0:1], v37, v33, s[0:1]
	v_mad_u64_u32 v[32:33], s[0:1], s2, v35, 0
	v_mov_b32_e32 v34, v33
	v_mad_u64_u32 v[34:35], s[0:1], s3, v35, v[34:35]
	v_mov_b32_e32 v33, v34
	v_lshlrev_b64 v[32:33], 4, v[32:33]
	v_add_co_u32_e64 v46, s[0:1], v36, v32
	v_addc_co_u32_e64 v47, s[0:1], v37, v33, s[0:1]
	global_load_dwordx4 v[36:39], v[44:45], off
	global_load_dwordx4 v[32:35], v[46:47], off
.LBB0_11:
	s_or_b64 exec, exec, s[6:7]
	v_mov_b32_e32 v48, v49
.LBB0_12:
	s_or_b64 exec, exec, s[4:5]
	s_mov_b32 s0, 0xaaaaaaab
	v_mul_hi_u32 v43, v42, s0
	v_lshrrev_b32_e32 v43, 1, v43
	v_lshl_add_u32 v43, v43, 1, v43
	v_sub_u32_e32 v42, v42, v43
	v_mul_u32_u24_e32 v42, 0x1ea, v42
	v_cmp_gt_u32_e64 s[0:1], 49, v49
	v_lshlrev_b32_e32 v50, 4, v42
	s_and_saveexec_b64 s[4:5], s[0:1]
	s_cbranch_execz .LBB0_14
; %bb.13:
	s_waitcnt vmcnt(5)
	v_add_f64 v[42:43], v[6:7], -v[18:19]
	s_waitcnt vmcnt(1)
	v_add_f64 v[44:45], v[38:39], -v[30:31]
	v_add_f64 v[46:47], v[44:45], v[42:43]
	v_add_f64 v[42:43], v[24:25], -v[8:9]
	s_waitcnt vmcnt(0)
	v_add_f64 v[44:45], v[32:33], -v[20:21]
	v_add_f64 v[52:53], v[44:45], v[42:43]
	v_add_f64 v[44:45], v[26:27], -v[10:11]
	v_add_f64 v[54:55], v[34:35], -v[22:23]
	v_add_f64 v[54:55], v[54:55], v[44:45]
	v_add_f64 v[44:45], v[22:23], v[10:11]
	;; [unrolled: 1-line block ×3, first 2 shown]
	v_fma_f64 v[44:45], -0.5, v[44:45], v[14:15]
	v_fma_f64 v[62:63], -0.5, v[62:63], v[14:15]
	v_add_f64 v[14:15], v[26:27], v[14:15]
	v_add_f64 v[64:65], v[26:27], -v[34:35]
	v_add_f64 v[26:27], v[10:11], -v[26:27]
	v_add_f64 v[66:67], v[22:23], -v[34:35]
	v_add_f64 v[26:27], v[66:67], v[26:27]
	s_mov_b32 s14, 0x134454ff
	v_add_f64 v[66:67], v[38:39], v[6:7]
	v_add_f64 v[56:57], v[18:19], -v[6:7]
	v_add_f64 v[58:59], v[30:31], -v[38:39]
	s_mov_b32 s15, 0xbfee6f0e
	s_mov_b32 s0, 0x4755a5e
	;; [unrolled: 1-line block ×4, first 2 shown]
	v_fma_f64 v[66:67], -0.5, v[66:67], v[2:3]
	v_add_f64 v[70:71], v[16:17], -v[28:29]
	v_add_f64 v[56:57], v[58:59], v[56:57]
	v_add_f64 v[58:59], v[8:9], -v[24:25]
	v_add_f64 v[60:61], v[20:21], -v[32:33]
	s_mov_b32 s1, 0xbfe2cf23
	s_mov_b32 s6, 0x372fe950
	s_mov_b32 s11, 0x3fe2cf23
	s_mov_b32 s10, s0
	v_add_f64 v[68:69], v[4:5], -v[36:37]
	v_fma_f64 v[72:73], s[16:17], v[70:71], v[66:67]
	v_fmac_f64_e32 v[66:67], s[14:15], v[70:71]
	v_add_f64 v[58:59], v[60:61], v[58:59]
	v_add_f64 v[60:61], v[32:33], v[24:25]
	s_mov_b32 s7, 0x3fd3c6ef
	v_fmac_f64_e32 v[72:73], s[0:1], v[68:69]
	v_fmac_f64_e32 v[66:67], s[10:11], v[68:69]
	v_fma_f64 v[60:61], -0.5, v[60:61], v[12:13]
	v_fmac_f64_e32 v[72:73], s[6:7], v[56:57]
	v_fmac_f64_e32 v[66:67], s[6:7], v[56:57]
	v_add_f64 v[56:57], v[10:11], -v[22:23]
	v_fma_f64 v[74:75], s[14:15], v[56:57], v[60:61]
	v_fmac_f64_e32 v[60:61], s[16:17], v[56:57]
	v_fmac_f64_e32 v[74:75], s[10:11], v[64:65]
	v_fmac_f64_e32 v[60:61], s[0:1], v[64:65]
	v_add_f64 v[42:43], v[20:21], v[8:9]
	v_fmac_f64_e32 v[74:75], s[6:7], v[58:59]
	v_fmac_f64_e32 v[60:61], s[6:7], v[58:59]
	v_add_f64 v[58:59], v[8:9], -v[20:21]
	v_fma_f64 v[42:43], -0.5, v[42:43], v[12:13]
	v_add_f64 v[12:13], v[24:25], v[12:13]
	v_add_f64 v[24:25], v[24:25], -v[32:33]
	v_fma_f64 v[76:77], s[16:17], v[58:59], v[62:63]
	v_fmac_f64_e32 v[62:63], s[14:15], v[58:59]
	v_fmac_f64_e32 v[76:77], s[0:1], v[24:25]
	;; [unrolled: 1-line block ×5, first 2 shown]
	v_add_f64 v[26:27], v[30:31], v[18:19]
	v_fma_f64 v[78:79], -0.5, v[26:27], v[2:3]
	v_fma_f64 v[26:27], s[14:15], v[68:69], v[78:79]
	v_fmac_f64_e32 v[78:79], s[16:17], v[68:69]
	v_fmac_f64_e32 v[26:27], s[0:1], v[70:71]
	v_fmac_f64_e32 v[78:79], s[10:11], v[70:71]
	v_fmac_f64_e32 v[26:27], s[6:7], v[46:47]
	v_fmac_f64_e32 v[78:79], s[6:7], v[46:47]
	v_fma_f64 v[46:47], s[16:17], v[64:65], v[42:43]
	v_fmac_f64_e32 v[42:43], s[14:15], v[64:65]
	v_fmac_f64_e32 v[46:47], s[10:11], v[56:57]
	v_fmac_f64_e32 v[42:43], s[0:1], v[56:57]
	v_fmac_f64_e32 v[46:47], s[6:7], v[52:53]
	v_fmac_f64_e32 v[42:43], s[6:7], v[52:53]
	;; [unrolled: 6-line block ×3, first 2 shown]
	v_add_f64 v[24:25], v[4:5], -v[16:17]
	v_add_f64 v[54:55], v[36:37], -v[28:29]
	v_add_f64 v[24:25], v[54:55], v[24:25]
	v_add_f64 v[54:55], v[28:29], v[16:17]
	;; [unrolled: 1-line block ×3, first 2 shown]
	v_fma_f64 v[54:55], -0.5, v[54:55], v[0:1]
	v_fma_f64 v[56:57], -0.5, v[56:57], v[0:1]
	v_add_f64 v[0:1], v[4:5], v[0:1]
	v_add_f64 v[4:5], v[16:17], -v[4:5]
	v_add_f64 v[0:1], v[16:17], v[0:1]
	v_add_f64 v[16:17], v[18:19], -v[30:31]
	;; [unrolled: 2-line block ×3, first 2 shown]
	s_mov_b32 s18, 0x9b97f4a8
	v_add_f64 v[0:1], v[28:29], v[0:1]
	v_add_f64 v[28:29], v[28:29], -v[36:37]
	v_fma_f64 v[58:59], s[14:15], v[16:17], v[56:57]
	v_fmac_f64_e32 v[56:57], s[16:17], v[16:17]
	s_mov_b32 s19, 0xbfe9e377
	v_add_f64 v[4:5], v[28:29], v[4:5]
	v_fmac_f64_e32 v[58:59], s[10:11], v[6:7]
	v_fmac_f64_e32 v[56:57], s[0:1], v[6:7]
	v_add_f64 v[8:9], v[8:9], v[12:13]
	v_add_f64 v[2:3], v[18:19], v[2:3]
	v_mul_f64 v[18:19], v[52:53], s[18:19]
	v_mul_f64 v[52:53], v[52:53], s[0:1]
	v_fmac_f64_e32 v[58:59], s[6:7], v[4:5]
	v_fmac_f64_e32 v[56:57], s[6:7], v[4:5]
	v_fma_f64 v[4:5], s[16:17], v[6:7], v[54:55]
	v_fmac_f64_e32 v[54:55], s[14:15], v[6:7]
	v_add_f64 v[8:9], v[20:21], v[8:9]
	v_fmac_f64_e32 v[52:53], s[18:19], v[46:47]
	v_add_f64 v[2:3], v[30:31], v[2:3]
	v_mul_f64 v[30:31], v[60:61], s[16:17]
	v_fmac_f64_e32 v[4:5], s[10:11], v[16:17]
	v_fmac_f64_e32 v[54:55], s[0:1], v[16:17]
	v_add_f64 v[36:37], v[36:37], v[0:1]
	v_add_f64 v[0:1], v[10:11], v[14:15]
	s_mov_b32 s19, 0x3fe9e377
	v_add_f64 v[64:65], v[32:33], v[8:9]
	v_mul_f64 v[32:33], v[44:45], s[0:1]
	s_mov_b32 s21, 0xbfd3c6ef
	s_mov_b32 s20, s6
	v_fmac_f64_e32 v[30:31], s[6:7], v[62:63]
	v_mul_f64 v[62:63], v[62:63], s[14:15]
	v_add_f64 v[0:1], v[22:23], v[0:1]
	v_fmac_f64_e32 v[4:5], s[6:7], v[24:25]
	v_fmac_f64_e32 v[54:55], s[6:7], v[24:25]
	v_mul_f64 v[24:25], v[42:43], s[10:11]
	v_fmac_f64_e32 v[32:33], s[18:19], v[42:43]
	v_mul_u32_u24_e32 v42, 10, v49
	v_fmac_f64_e32 v[18:19], s[10:11], v[46:47]
	v_mul_f64 v[28:29], v[76:77], s[20:21]
	v_mul_f64 v[46:47], v[76:77], s[14:15]
	v_fmac_f64_e32 v[62:63], s[6:7], v[60:61]
	v_add_f64 v[38:39], v[38:39], v[2:3]
	v_add_f64 v[60:61], v[34:35], v[0:1]
	v_lshlrev_b32_e32 v42, 4, v42
	v_fmac_f64_e32 v[28:29], s[16:17], v[74:75]
	v_fmac_f64_e32 v[46:47], s[20:21], v[74:75]
	;; [unrolled: 1-line block ×3, first 2 shown]
	v_add_f64 v[22:23], v[38:39], -v[60:61]
	v_add_f64 v[20:21], v[36:37], -v[64:65]
	v_add_f64 v[38:39], v[60:61], v[38:39]
	v_add_f64 v[36:37], v[64:65], v[36:37]
	v_add3_u32 v42, 0, v42, v50
	v_add_f64 v[2:3], v[26:27], -v[18:19]
	v_add_f64 v[6:7], v[72:73], -v[28:29]
	;; [unrolled: 1-line block ×5, first 2 shown]
	v_add_f64 v[18:19], v[26:27], v[18:19]
	v_add_f64 v[16:17], v[4:5], v[52:53]
	v_add_f64 v[4:5], v[58:59], -v[46:47]
	v_add_f64 v[8:9], v[56:57], -v[62:63]
	;; [unrolled: 1-line block ×3, first 2 shown]
	v_add_f64 v[26:27], v[72:73], v[28:29]
	v_add_f64 v[30:31], v[66:67], v[30:31]
	;; [unrolled: 1-line block ×6, first 2 shown]
	ds_write_b128 v42, v[36:39]
	ds_write_b128 v42, v[32:35] offset:16
	ds_write_b128 v42, v[28:31] offset:32
	;; [unrolled: 1-line block ×9, first 2 shown]
.LBB0_14:
	s_or_b64 exec, exec, s[4:5]
	s_movk_i32 s0, 0xcd
	s_waitcnt vmcnt(9)
	v_mul_lo_u16_sdwa v0, v49, s0 dst_sel:DWORD dst_unused:UNUSED_PAD src0_sel:BYTE_0 src1_sel:DWORD
	v_lshrrev_b16_e32 v51, 11, v0
	v_mul_lo_u16_e32 v0, 10, v51
	v_sub_u16_e32 v70, v49, v0
	v_mov_b32_e32 v0, 6
	v_mul_u32_u24_sdwa v0, v70, v0 dst_sel:DWORD dst_unused:UNUSED_PAD src0_sel:BYTE_0 src1_sel:DWORD
	v_lshlrev_b32_e32 v0, 4, v0
	s_waitcnt lgkmcnt(0)
	s_barrier
	global_load_dwordx4 v[2:5], v0, s[8:9]
	global_load_dwordx4 v[6:9], v0, s[8:9] offset:16
	global_load_dwordx4 v[10:13], v0, s[8:9] offset:32
	global_load_dwordx4 v[14:17], v0, s[8:9] offset:48
	global_load_dwordx4 v[18:21], v0, s[8:9] offset:64
	global_load_dwordx4 v[22:25], v0, s[8:9] offset:80
	v_lshlrev_b32_e32 v1, 4, v49
	v_add3_u32 v0, 0, v50, v1
	v_add3_u32 v1, 0, v1, v50
	s_waitcnt vmcnt(9)
	ds_read_b128 v[26:29], v0
	s_waitcnt vmcnt(6)
	ds_read_b128 v[30:33], v1 offset:1120
	ds_read_b128 v[34:37], v1 offset:2240
	;; [unrolled: 1-line block ×6, first 2 shown]
	s_mov_b32 s14, 0xe976ee23
	s_mov_b32 s0, 0x37e14327
	s_mov_b32 s4, 0x36b3c0b5
	s_mov_b32 s15, 0x3fe11646
	s_mov_b32 s6, 0x429ad128
	s_mov_b32 s16, 0xaaaaaaaa
	s_mov_b32 s1, 0x3fe948f6
	s_mov_b32 s5, 0x3fac98ee
	s_mov_b32 s7, 0xbfebfeb5
	s_mov_b32 s17, 0xbff2aaaa
	s_mov_b32 s10, 0x5476071b
	s_mov_b32 s24, 0xb247c609
	s_mov_b32 s11, 0x3fe77f67
	s_mov_b32 s19, 0xbfe77f67
	s_mov_b32 s18, s10
	s_mov_b32 s25, 0xbfd5d0dc
	s_mov_b32 s23, 0x3fd5d0dc
	s_mov_b32 s22, s24
	s_mov_b32 s20, 0x37c3f68c
	s_mov_b32 s21, 0xbfdc38aa
	s_movk_i32 s26, 0x460
	s_waitcnt lgkmcnt(0)
	s_barrier
	s_waitcnt vmcnt(5)
	v_mul_f64 v[38:39], v[32:33], v[4:5]
	v_mul_f64 v[4:5], v[30:31], v[4:5]
	s_waitcnt vmcnt(4)
	v_mul_f64 v[46:47], v[36:37], v[8:9]
	v_mul_f64 v[8:9], v[34:35], v[8:9]
	;; [unrolled: 3-line block ×3, first 2 shown]
	s_waitcnt vmcnt(1)
	v_mul_f64 v[68:69], v[58:59], v[20:21]
	v_fmac_f64_e32 v[38:39], v[30:31], v[2:3]
	v_fma_f64 v[2:3], v[32:33], v[2:3], -v[4:5]
	v_mul_f64 v[4:5], v[56:57], v[20:21]
	s_waitcnt vmcnt(0)
	v_mul_f64 v[20:21], v[62:63], v[24:25]
	v_mul_f64 v[24:25], v[60:61], v[24:25]
	;; [unrolled: 1-line block ×4, first 2 shown]
	v_fmac_f64_e32 v[46:47], v[34:35], v[6:7]
	v_fma_f64 v[6:7], v[36:37], v[6:7], -v[8:9]
	v_fma_f64 v[8:9], v[44:45], v[10:11], -v[12:13]
	v_fmac_f64_e32 v[68:69], v[56:57], v[18:19]
	v_fmac_f64_e32 v[20:21], v[60:61], v[22:23]
	v_fma_f64 v[12:13], v[62:63], v[22:23], -v[24:25]
	v_fmac_f64_e32 v[64:65], v[42:43], v[10:11]
	v_fmac_f64_e32 v[66:67], v[52:53], v[14:15]
	v_fma_f64 v[10:11], v[54:55], v[14:15], -v[16:17]
	v_fma_f64 v[4:5], v[58:59], v[18:19], -v[4:5]
	v_add_f64 v[14:15], v[38:39], v[20:21]
	v_add_f64 v[16:17], v[2:3], v[12:13]
	v_add_f64 v[2:3], v[2:3], -v[12:13]
	v_add_f64 v[12:13], v[46:47], v[68:69]
	v_add_f64 v[18:19], v[38:39], -v[20:21]
	;; [unrolled: 2-line block ×3, first 2 shown]
	v_add_f64 v[6:7], v[64:65], v[66:67]
	v_add_f64 v[24:25], v[8:9], v[10:11]
	v_add_f64 v[8:9], v[10:11], -v[8:9]
	v_add_f64 v[10:11], v[12:13], v[14:15]
	v_add_f64 v[32:33], v[20:21], v[16:17]
	v_add_f64 v[34:35], v[12:13], -v[14:15]
	v_add_f64 v[14:15], v[14:15], -v[6:7]
	;; [unrolled: 1-line block ×3, first 2 shown]
	v_add_f64 v[42:43], v[8:9], v[4:5]
	v_add_f64 v[6:7], v[6:7], v[10:11]
	v_add_f64 v[22:23], v[46:47], -v[68:69]
	v_add_f64 v[30:31], v[66:67], -v[64:65]
	;; [unrolled: 1-line block ×8, first 2 shown]
	v_add_f64 v[10:11], v[24:25], v[32:33]
	v_add_f64 v[24:25], v[42:43], v[2:3]
	;; [unrolled: 1-line block ×4, first 2 shown]
	v_add_f64 v[44:45], v[30:31], -v[22:23]
	v_add_f64 v[22:23], v[22:23], -v[18:19]
	v_add_f64 v[4:5], v[28:29], v[10:11]
	v_mul_f64 v[26:27], v[46:47], s[14:15]
	v_pk_mov_b32 v[46:47], v[2:3], v[2:3] op_sel:[0,1]
	v_add_f64 v[30:31], v[18:19], -v[30:31]
	v_mul_f64 v[14:15], v[14:15], s[0:1]
	v_mul_f64 v[16:17], v[16:17], s[0:1]
	;; [unrolled: 1-line block ×5, first 2 shown]
	v_fmac_f64_e32 v[46:47], s[16:17], v[6:7]
	v_pk_mov_b32 v[6:7], v[4:5], v[4:5] op_sel:[0,1]
	v_add_f64 v[18:19], v[38:39], v[18:19]
	v_mul_f64 v[38:39], v[20:21], s[4:5]
	v_mul_f64 v[44:45], v[52:53], s[6:7]
	v_fmac_f64_e32 v[6:7], s[16:17], v[10:11]
	v_fma_f64 v[10:11], v[34:35], s[10:11], -v[32:33]
	v_fma_f64 v[34:35], v[34:35], s[18:19], -v[14:15]
	v_fmac_f64_e32 v[14:15], s[4:5], v[12:13]
	v_fma_f64 v[12:13], v[36:37], s[18:19], -v[16:17]
	v_fmac_f64_e32 v[16:17], s[4:5], v[20:21]
	;; [unrolled: 2-line block ×3, first 2 shown]
	v_fma_f64 v[30:31], v[30:31], s[22:23], -v[42:43]
	v_fma_f64 v[32:33], v[36:37], s[10:11], -v[38:39]
	;; [unrolled: 1-line block ×3, first 2 shown]
	v_fmac_f64_e32 v[26:27], s[24:25], v[8:9]
	v_fma_f64 v[36:37], v[8:9], s[22:23], -v[44:45]
	v_add_f64 v[38:39], v[14:15], v[46:47]
	v_add_f64 v[44:45], v[10:11], v[46:47]
	;; [unrolled: 1-line block ×4, first 2 shown]
	v_fmac_f64_e32 v[30:31], s[20:21], v[18:19]
	v_fmac_f64_e32 v[26:27], s[20:21], v[24:25]
	;; [unrolled: 1-line block ×4, first 2 shown]
	v_add_f64 v[12:13], v[46:47], -v[30:31]
	v_add_f64 v[24:25], v[30:31], v[46:47]
	v_mov_b32_e32 v31, 4
	v_mad_u32_u24 v30, v51, s26, 0
	v_lshlrev_b32_sdwa v31, v31, v70 dst_sel:DWORD dst_unused:UNUSED_PAD src0_sel:DWORD src1_sel:BYTE_0
	v_add_f64 v[42:43], v[16:17], v[6:7]
	v_add_f64 v[32:33], v[32:33], v[6:7]
	v_fmac_f64_e32 v[28:29], s[20:21], v[18:19]
	v_fmac_f64_e32 v[20:21], s[20:21], v[18:19]
	v_add3_u32 v30, v30, v31, v50
	v_add_f64 v[6:7], v[26:27], v[38:39]
	v_add_f64 v[8:9], v[42:43], -v[28:29]
	v_add_f64 v[10:11], v[36:37], v[34:35]
	v_add_f64 v[14:15], v[44:45], -v[22:23]
	v_add_f64 v[16:17], v[20:21], v[32:33]
	v_add_f64 v[18:19], v[22:23], v[44:45]
	v_add_f64 v[20:21], v[32:33], -v[20:21]
	v_add_f64 v[22:23], v[34:35], -v[36:37]
	;; [unrolled: 1-line block ×3, first 2 shown]
	v_add_f64 v[28:29], v[28:29], v[42:43]
	ds_write_b128 v30, v[2:5]
	ds_write_b128 v30, v[6:9] offset:160
	ds_write_b128 v30, v[10:13] offset:320
	;; [unrolled: 1-line block ×6, first 2 shown]
	s_waitcnt lgkmcnt(0)
	s_barrier
	s_and_saveexec_b64 s[26:27], vcc
	s_cbranch_execz .LBB0_16
; %bb.15:
	v_mul_u32_u24_e32 v2, 6, v49
	v_lshlrev_b32_e32 v26, 4, v2
	global_load_dwordx4 v[2:5], v26, s[8:9] offset:1008
	global_load_dwordx4 v[6:9], v26, s[8:9] offset:992
	;; [unrolled: 1-line block ×6, first 2 shown]
	ds_read_b128 v[26:29], v1 offset:3360
	ds_read_b128 v[30:33], v1 offset:2240
	;; [unrolled: 1-line block ×6, first 2 shown]
	ds_read_b128 v[58:61], v0
	s_waitcnt vmcnt(5) lgkmcnt(4)
	v_mul_f64 v[0:1], v[4:5], v[36:37]
	s_waitcnt vmcnt(4)
	v_mul_f64 v[38:39], v[8:9], v[28:29]
	v_mul_f64 v[8:9], v[26:27], v[8:9]
	s_waitcnt vmcnt(3)
	v_mul_f64 v[46:47], v[12:13], v[32:33]
	s_waitcnt vmcnt(2) lgkmcnt(3)
	v_mul_f64 v[62:63], v[16:17], v[44:45]
	s_waitcnt vmcnt(1) lgkmcnt(1)
	v_mul_f64 v[64:65], v[20:21], v[56:57]
	v_mul_f64 v[4:5], v[34:35], v[4:5]
	;; [unrolled: 1-line block ×4, first 2 shown]
	v_fmac_f64_e32 v[38:39], v[6:7], v[26:27]
	v_fma_f64 v[6:7], v[6:7], v[28:29], -v[8:9]
	v_mul_f64 v[8:9], v[54:55], v[20:21]
	s_waitcnt vmcnt(0)
	v_mul_f64 v[20:21], v[50:51], v[24:25]
	v_mul_f64 v[66:67], v[24:25], v[52:53]
	v_fmac_f64_e32 v[0:1], v[2:3], v[34:35]
	v_fmac_f64_e32 v[46:47], v[10:11], v[30:31]
	;; [unrolled: 1-line block ×3, first 2 shown]
	v_fma_f64 v[2:3], v[2:3], v[36:37], -v[4:5]
	v_fma_f64 v[4:5], v[10:11], v[32:33], -v[12:13]
	;; [unrolled: 1-line block ×5, first 2 shown]
	v_fmac_f64_e32 v[64:65], v[18:19], v[54:55]
	v_fmac_f64_e32 v[66:67], v[22:23], v[50:51]
	v_add_f64 v[14:15], v[0:1], -v[38:39]
	v_add_f64 v[16:17], v[46:47], -v[62:63]
	v_add_f64 v[22:23], v[4:5], v[10:11]
	v_add_f64 v[24:25], v[8:9], v[12:13]
	v_add_f64 v[18:19], v[64:65], -v[66:67]
	v_add_f64 v[20:21], v[2:3], v[6:7]
	v_add_f64 v[30:31], v[4:5], -v[10:11]
	v_add_f64 v[4:5], v[14:15], v[16:17]
	v_add_f64 v[32:33], v[22:23], v[24:25]
	v_add_f64 v[2:3], v[2:3], -v[6:7]
	v_add_f64 v[8:9], v[8:9], -v[12:13]
	;; [unrolled: 1-line block ×5, first 2 shown]
	v_add_f64 v[18:19], v[4:5], v[18:19]
	v_add_f64 v[4:5], v[20:21], v[32:33]
	;; [unrolled: 1-line block ×4, first 2 shown]
	v_add_f64 v[14:15], v[24:25], -v[20:21]
	v_add_f64 v[42:43], v[2:3], v[30:31]
	v_add_f64 v[44:45], v[2:3], -v[30:31]
	v_add_f64 v[46:47], v[8:9], -v[2:3]
	s_waitcnt lgkmcnt(0)
	v_add_f64 v[2:3], v[60:61], v[4:5]
	v_add_f64 v[0:1], v[0:1], v[38:39]
	v_add_f64 v[12:13], v[20:21], -v[22:23]
	v_add_f64 v[38:39], v[26:27], v[28:29]
	v_mul_f64 v[14:15], v[14:15], s[0:1]
	v_pk_mov_b32 v[56:57], v[2:3], v[2:3] op_sel:[0,1]
	v_add_f64 v[36:37], v[28:29], -v[0:1]
	v_mul_f64 v[50:51], v[6:7], s[14:15]
	v_mul_f64 v[52:53], v[12:13], s[4:5]
	v_add_f64 v[6:7], v[0:1], v[38:39]
	v_fma_f64 v[12:13], s[4:5], v[12:13], v[14:15]
	v_fmac_f64_e32 v[56:57], s[16:17], v[4:5]
	v_add_f64 v[34:35], v[0:1], -v[26:27]
	v_mul_f64 v[32:33], v[36:37], s[0:1]
	v_add_f64 v[36:37], v[42:43], v[8:9]
	v_mul_f64 v[42:43], v[16:17], s[6:7]
	v_add_f64 v[0:1], v[58:59], v[6:7]
	v_add_f64 v[60:61], v[12:13], v[56:57]
	v_add_f64 v[12:13], v[22:23], -v[24:25]
	v_mul_f64 v[20:21], v[34:35], s[4:5]
	v_mul_f64 v[38:39], v[44:45], s[14:15]
	v_fma_f64 v[44:45], s[24:25], v[10:11], v[50:51]
	v_fma_f64 v[42:43], v[10:11], s[22:23], -v[42:43]
	v_pk_mov_b32 v[58:59], v[0:1], v[0:1] op_sel:[0,1]
	v_fma_f64 v[10:11], v[12:13], s[18:19], -v[14:15]
	v_add_f64 v[24:25], v[26:27], -v[28:29]
	v_add_f64 v[28:29], v[30:31], -v[8:9]
	v_fma_f64 v[12:13], v[12:13], s[10:11], -v[52:53]
	v_fma_f64 v[34:35], s[4:5], v[34:35], v[32:33]
	v_fmac_f64_e32 v[58:59], s[16:17], v[6:7]
	v_fma_f64 v[14:15], v[24:25], s[18:19], -v[32:33]
	v_mul_f64 v[8:9], v[28:29], s[6:7]
	v_add_f64 v[32:33], v[12:13], v[56:57]
	v_fma_f64 v[16:17], v[16:17], s[6:7], -v[50:51]
	v_fma_f64 v[28:29], v[28:29], s[6:7], -v[38:39]
	;; [unrolled: 1-line block ×4, first 2 shown]
	v_fmac_f64_e32 v[16:17], s[20:21], v[18:19]
	v_fmac_f64_e32 v[28:29], s[20:21], v[36:37]
	v_add_f64 v[20:21], v[12:13], v[58:59]
	v_fmac_f64_e32 v[44:45], s[20:21], v[18:19]
	v_fmac_f64_e32 v[42:43], s[20:21], v[18:19]
	v_add_f64 v[26:27], v[14:15], v[58:59]
	v_fmac_f64_e32 v[30:31], s[20:21], v[36:37]
	v_add_f64 v[14:15], v[32:33], -v[16:17]
	v_add_f64 v[12:13], v[28:29], v[20:21]
	v_add_f64 v[18:19], v[16:17], v[32:33]
	v_add_f64 v[16:17], v[20:21], -v[28:29]
	v_mad_u64_u32 v[28:29], s[0:1], s2, v48, 0
	v_add_f64 v[8:9], v[26:27], -v[30:31]
	v_add_f64 v[20:21], v[30:31], v[26:27]
	v_mov_b32_e32 v30, v29
	v_mad_u64_u32 v[30:31], s[0:1], s3, v48, v[30:31]
	v_mov_b32_e32 v29, v30
	v_lshlrev_b64 v[30:31], 4, v[40:41]
	v_mov_b32_e32 v32, s13
	v_add_co_u32_e32 v30, vcc, s12, v30
	v_addc_co_u32_e32 v31, vcc, v32, v31, vcc
	v_lshlrev_b64 v[28:29], 4, v[28:29]
	v_add_co_u32_e32 v28, vcc, v30, v28
	v_addc_co_u32_e32 v29, vcc, v31, v29, vcc
	global_store_dwordx4 v[28:29], v[0:3], off
	v_fma_f64 v[54:55], s[24:25], v[46:47], v[38:39]
	v_add_u32_e32 v3, 0x46, v48
	v_mad_u64_u32 v[0:1], s[0:1], s2, v3, 0
	v_mov_b32_e32 v2, v1
	v_mad_u64_u32 v[2:3], s[0:1], s3, v3, v[2:3]
	v_mov_b32_e32 v1, v2
	v_lshlrev_b64 v[0:1], 4, v[0:1]
	v_fmac_f64_e32 v[54:55], s[20:21], v[36:37]
	v_add_f64 v[34:35], v[34:35], v[58:59]
	v_add_co_u32_e32 v0, vcc, v30, v0
	v_add_f64 v[26:27], v[60:61], -v[44:45]
	v_add_f64 v[24:25], v[54:55], v[34:35]
	v_addc_co_u32_e32 v1, vcc, v31, v1, vcc
	v_add_u32_e32 v3, 0x8c, v48
	global_store_dwordx4 v[0:1], v[24:27], off
	v_mad_u64_u32 v[0:1], s[0:1], s2, v3, 0
	v_mov_b32_e32 v2, v1
	v_mad_u64_u32 v[2:3], s[0:1], s3, v3, v[2:3]
	v_mov_b32_e32 v1, v2
	v_lshlrev_b64 v[0:1], 4, v[0:1]
	v_add_f64 v[22:23], v[10:11], v[56:57]
	v_add_co_u32_e32 v0, vcc, v30, v0
	v_add_f64 v[10:11], v[42:43], v[22:23]
	v_add_f64 v[22:23], v[22:23], -v[42:43]
	v_addc_co_u32_e32 v1, vcc, v31, v1, vcc
	v_add_u32_e32 v3, 0xd2, v48
	global_store_dwordx4 v[0:1], v[20:23], off
	v_mad_u64_u32 v[0:1], s[0:1], s2, v3, 0
	v_mov_b32_e32 v2, v1
	v_mad_u64_u32 v[2:3], s[0:1], s3, v3, v[2:3]
	v_mov_b32_e32 v1, v2
	v_lshlrev_b64 v[0:1], 4, v[0:1]
	v_add_co_u32_e32 v0, vcc, v30, v0
	v_addc_co_u32_e32 v1, vcc, v31, v1, vcc
	v_add_u32_e32 v3, 0x118, v48
	global_store_dwordx4 v[0:1], v[16:19], off
	v_mad_u64_u32 v[0:1], s[0:1], s2, v3, 0
	v_mov_b32_e32 v2, v1
	v_mad_u64_u32 v[2:3], s[0:1], s3, v3, v[2:3]
	v_mov_b32_e32 v1, v2
	v_lshlrev_b64 v[0:1], 4, v[0:1]
	v_add_co_u32_e32 v0, vcc, v30, v0
	;; [unrolled: 9-line block ×4, first 2 shown]
	v_add_f64 v[6:7], v[44:45], v[60:61]
	v_add_f64 v[4:5], v[34:35], -v[54:55]
	v_addc_co_u32_e32 v1, vcc, v31, v1, vcc
	global_store_dwordx4 v[0:1], v[4:7], off
.LBB0_16:
	s_endpgm
	.section	.rodata,"a",@progbits
	.p2align	6, 0x0
	.amdhsa_kernel fft_rtc_back_len490_factors_10_7_7_wgs_210_tpt_70_dp_ip_CI_sbrr_dirReg
		.amdhsa_group_segment_fixed_size 0
		.amdhsa_private_segment_fixed_size 0
		.amdhsa_kernarg_size 88
		.amdhsa_user_sgpr_count 6
		.amdhsa_user_sgpr_private_segment_buffer 1
		.amdhsa_user_sgpr_dispatch_ptr 0
		.amdhsa_user_sgpr_queue_ptr 0
		.amdhsa_user_sgpr_kernarg_segment_ptr 1
		.amdhsa_user_sgpr_dispatch_id 0
		.amdhsa_user_sgpr_flat_scratch_init 0
		.amdhsa_user_sgpr_kernarg_preload_length 0
		.amdhsa_user_sgpr_kernarg_preload_offset 0
		.amdhsa_user_sgpr_private_segment_size 0
		.amdhsa_uses_dynamic_stack 0
		.amdhsa_system_sgpr_private_segment_wavefront_offset 0
		.amdhsa_system_sgpr_workgroup_id_x 1
		.amdhsa_system_sgpr_workgroup_id_y 0
		.amdhsa_system_sgpr_workgroup_id_z 0
		.amdhsa_system_sgpr_workgroup_info 0
		.amdhsa_system_vgpr_workitem_id 0
		.amdhsa_next_free_vgpr 80
		.amdhsa_next_free_sgpr 28
		.amdhsa_accum_offset 80
		.amdhsa_reserve_vcc 1
		.amdhsa_reserve_flat_scratch 0
		.amdhsa_float_round_mode_32 0
		.amdhsa_float_round_mode_16_64 0
		.amdhsa_float_denorm_mode_32 3
		.amdhsa_float_denorm_mode_16_64 3
		.amdhsa_dx10_clamp 1
		.amdhsa_ieee_mode 1
		.amdhsa_fp16_overflow 0
		.amdhsa_tg_split 0
		.amdhsa_exception_fp_ieee_invalid_op 0
		.amdhsa_exception_fp_denorm_src 0
		.amdhsa_exception_fp_ieee_div_zero 0
		.amdhsa_exception_fp_ieee_overflow 0
		.amdhsa_exception_fp_ieee_underflow 0
		.amdhsa_exception_fp_ieee_inexact 0
		.amdhsa_exception_int_div_zero 0
	.end_amdhsa_kernel
	.text
.Lfunc_end0:
	.size	fft_rtc_back_len490_factors_10_7_7_wgs_210_tpt_70_dp_ip_CI_sbrr_dirReg, .Lfunc_end0-fft_rtc_back_len490_factors_10_7_7_wgs_210_tpt_70_dp_ip_CI_sbrr_dirReg
                                        ; -- End function
	.section	.AMDGPU.csdata,"",@progbits
; Kernel info:
; codeLenInByte = 5680
; NumSgprs: 32
; NumVgprs: 80
; NumAgprs: 0
; TotalNumVgprs: 80
; ScratchSize: 0
; MemoryBound: 1
; FloatMode: 240
; IeeeMode: 1
; LDSByteSize: 0 bytes/workgroup (compile time only)
; SGPRBlocks: 3
; VGPRBlocks: 9
; NumSGPRsForWavesPerEU: 32
; NumVGPRsForWavesPerEU: 80
; AccumOffset: 80
; Occupancy: 6
; WaveLimiterHint : 1
; COMPUTE_PGM_RSRC2:SCRATCH_EN: 0
; COMPUTE_PGM_RSRC2:USER_SGPR: 6
; COMPUTE_PGM_RSRC2:TRAP_HANDLER: 0
; COMPUTE_PGM_RSRC2:TGID_X_EN: 1
; COMPUTE_PGM_RSRC2:TGID_Y_EN: 0
; COMPUTE_PGM_RSRC2:TGID_Z_EN: 0
; COMPUTE_PGM_RSRC2:TIDIG_COMP_CNT: 0
; COMPUTE_PGM_RSRC3_GFX90A:ACCUM_OFFSET: 19
; COMPUTE_PGM_RSRC3_GFX90A:TG_SPLIT: 0
	.text
	.p2alignl 6, 3212836864
	.fill 256, 4, 3212836864
	.type	__hip_cuid_ebf524631dd7e57d,@object ; @__hip_cuid_ebf524631dd7e57d
	.section	.bss,"aw",@nobits
	.globl	__hip_cuid_ebf524631dd7e57d
__hip_cuid_ebf524631dd7e57d:
	.byte	0                               ; 0x0
	.size	__hip_cuid_ebf524631dd7e57d, 1

	.ident	"AMD clang version 19.0.0git (https://github.com/RadeonOpenCompute/llvm-project roc-6.4.0 25133 c7fe45cf4b819c5991fe208aaa96edf142730f1d)"
	.section	".note.GNU-stack","",@progbits
	.addrsig
	.addrsig_sym __hip_cuid_ebf524631dd7e57d
	.amdgpu_metadata
---
amdhsa.kernels:
  - .agpr_count:     0
    .args:
      - .actual_access:  read_only
        .address_space:  global
        .offset:         0
        .size:           8
        .value_kind:     global_buffer
      - .offset:         8
        .size:           8
        .value_kind:     by_value
      - .actual_access:  read_only
        .address_space:  global
        .offset:         16
        .size:           8
        .value_kind:     global_buffer
      - .actual_access:  read_only
        .address_space:  global
        .offset:         24
        .size:           8
        .value_kind:     global_buffer
      - .offset:         32
        .size:           8
        .value_kind:     by_value
      - .actual_access:  read_only
        .address_space:  global
        .offset:         40
        .size:           8
        .value_kind:     global_buffer
      - .actual_access:  read_only
        .address_space:  global
        .offset:         48
        .size:           8
        .value_kind:     global_buffer
      - .offset:         56
        .size:           4
        .value_kind:     by_value
      - .actual_access:  read_only
        .address_space:  global
        .offset:         64
        .size:           8
        .value_kind:     global_buffer
      - .actual_access:  read_only
        .address_space:  global
        .offset:         72
        .size:           8
        .value_kind:     global_buffer
      - .address_space:  global
        .offset:         80
        .size:           8
        .value_kind:     global_buffer
    .group_segment_fixed_size: 0
    .kernarg_segment_align: 8
    .kernarg_segment_size: 88
    .language:       OpenCL C
    .language_version:
      - 2
      - 0
    .max_flat_workgroup_size: 210
    .name:           fft_rtc_back_len490_factors_10_7_7_wgs_210_tpt_70_dp_ip_CI_sbrr_dirReg
    .private_segment_fixed_size: 0
    .sgpr_count:     32
    .sgpr_spill_count: 0
    .symbol:         fft_rtc_back_len490_factors_10_7_7_wgs_210_tpt_70_dp_ip_CI_sbrr_dirReg.kd
    .uniform_work_group_size: 1
    .uses_dynamic_stack: false
    .vgpr_count:     80
    .vgpr_spill_count: 0
    .wavefront_size: 64
amdhsa.target:   amdgcn-amd-amdhsa--gfx90a
amdhsa.version:
  - 1
  - 2
...

	.end_amdgpu_metadata
